;; amdgpu-corpus repo=ROCm/rocFFT kind=compiled arch=gfx1030 opt=O3
	.text
	.amdgcn_target "amdgcn-amd-amdhsa--gfx1030"
	.amdhsa_code_object_version 6
	.protected	fft_rtc_fwd_len2592_factors_6_6_6_6_2_wgs_216_tpt_216_halfLds_dp_op_CI_CI_unitstride_sbrr_C2R_dirReg ; -- Begin function fft_rtc_fwd_len2592_factors_6_6_6_6_2_wgs_216_tpt_216_halfLds_dp_op_CI_CI_unitstride_sbrr_C2R_dirReg
	.globl	fft_rtc_fwd_len2592_factors_6_6_6_6_2_wgs_216_tpt_216_halfLds_dp_op_CI_CI_unitstride_sbrr_C2R_dirReg
	.p2align	8
	.type	fft_rtc_fwd_len2592_factors_6_6_6_6_2_wgs_216_tpt_216_halfLds_dp_op_CI_CI_unitstride_sbrr_C2R_dirReg,@function
fft_rtc_fwd_len2592_factors_6_6_6_6_2_wgs_216_tpt_216_halfLds_dp_op_CI_CI_unitstride_sbrr_C2R_dirReg: ; @fft_rtc_fwd_len2592_factors_6_6_6_6_2_wgs_216_tpt_216_halfLds_dp_op_CI_CI_unitstride_sbrr_C2R_dirReg
; %bb.0:
	s_clause 0x2
	s_load_dwordx4 s[12:15], s[4:5], 0x0
	s_load_dwordx4 s[8:11], s[4:5], 0x58
	;; [unrolled: 1-line block ×3, first 2 shown]
	v_mul_u32_u24_e32 v1, 0x130, v0
	v_mov_b32_e32 v3, 0
	v_add_nc_u32_sdwa v5, s6, v1 dst_sel:DWORD dst_unused:UNUSED_PAD src0_sel:DWORD src1_sel:WORD_1
	v_mov_b32_e32 v1, 0
	v_mov_b32_e32 v6, v3
	v_mov_b32_e32 v2, 0
	s_waitcnt lgkmcnt(0)
	v_cmp_lt_u64_e64 s0, s[14:15], 2
	s_and_b32 vcc_lo, exec_lo, s0
	s_cbranch_vccnz .LBB0_8
; %bb.1:
	s_load_dwordx2 s[0:1], s[4:5], 0x10
	v_mov_b32_e32 v1, 0
	v_mov_b32_e32 v2, 0
	s_add_u32 s2, s18, 8
	s_addc_u32 s3, s19, 0
	s_add_u32 s6, s16, 8
	s_addc_u32 s7, s17, 0
	v_mov_b32_e32 v29, v2
	v_mov_b32_e32 v28, v1
	s_mov_b64 s[22:23], 1
	s_waitcnt lgkmcnt(0)
	s_add_u32 s20, s0, 8
	s_addc_u32 s21, s1, 0
.LBB0_2:                                ; =>This Inner Loop Header: Depth=1
	s_load_dwordx2 s[24:25], s[20:21], 0x0
                                        ; implicit-def: $vgpr32_vgpr33
	s_mov_b32 s0, exec_lo
	s_waitcnt lgkmcnt(0)
	v_or_b32_e32 v4, s25, v6
	v_cmpx_ne_u64_e32 0, v[3:4]
	s_xor_b32 s1, exec_lo, s0
	s_cbranch_execz .LBB0_4
; %bb.3:                                ;   in Loop: Header=BB0_2 Depth=1
	v_cvt_f32_u32_e32 v4, s24
	v_cvt_f32_u32_e32 v7, s25
	s_sub_u32 s0, 0, s24
	s_subb_u32 s26, 0, s25
	v_fmac_f32_e32 v4, 0x4f800000, v7
	v_rcp_f32_e32 v4, v4
	v_mul_f32_e32 v4, 0x5f7ffffc, v4
	v_mul_f32_e32 v7, 0x2f800000, v4
	v_trunc_f32_e32 v7, v7
	v_fmac_f32_e32 v4, 0xcf800000, v7
	v_cvt_u32_f32_e32 v7, v7
	v_cvt_u32_f32_e32 v4, v4
	v_mul_lo_u32 v8, s0, v7
	v_mul_hi_u32 v9, s0, v4
	v_mul_lo_u32 v10, s26, v4
	v_add_nc_u32_e32 v8, v9, v8
	v_mul_lo_u32 v9, s0, v4
	v_add_nc_u32_e32 v8, v8, v10
	v_mul_hi_u32 v10, v4, v9
	v_mul_lo_u32 v11, v4, v8
	v_mul_hi_u32 v12, v4, v8
	v_mul_hi_u32 v13, v7, v9
	v_mul_lo_u32 v9, v7, v9
	v_mul_hi_u32 v14, v7, v8
	v_mul_lo_u32 v8, v7, v8
	v_add_co_u32 v10, vcc_lo, v10, v11
	v_add_co_ci_u32_e32 v11, vcc_lo, 0, v12, vcc_lo
	v_add_co_u32 v9, vcc_lo, v10, v9
	v_add_co_ci_u32_e32 v9, vcc_lo, v11, v13, vcc_lo
	v_add_co_ci_u32_e32 v10, vcc_lo, 0, v14, vcc_lo
	v_add_co_u32 v8, vcc_lo, v9, v8
	v_add_co_ci_u32_e32 v9, vcc_lo, 0, v10, vcc_lo
	v_add_co_u32 v4, vcc_lo, v4, v8
	v_add_co_ci_u32_e32 v7, vcc_lo, v7, v9, vcc_lo
	v_mul_hi_u32 v8, s0, v4
	v_mul_lo_u32 v10, s26, v4
	v_mul_lo_u32 v9, s0, v7
	v_add_nc_u32_e32 v8, v8, v9
	v_mul_lo_u32 v9, s0, v4
	v_add_nc_u32_e32 v8, v8, v10
	v_mul_hi_u32 v10, v4, v9
	v_mul_lo_u32 v11, v4, v8
	v_mul_hi_u32 v12, v4, v8
	v_mul_hi_u32 v13, v7, v9
	v_mul_lo_u32 v9, v7, v9
	v_mul_hi_u32 v14, v7, v8
	v_mul_lo_u32 v8, v7, v8
	v_add_co_u32 v10, vcc_lo, v10, v11
	v_add_co_ci_u32_e32 v11, vcc_lo, 0, v12, vcc_lo
	v_add_co_u32 v9, vcc_lo, v10, v9
	v_add_co_ci_u32_e32 v9, vcc_lo, v11, v13, vcc_lo
	v_add_co_ci_u32_e32 v10, vcc_lo, 0, v14, vcc_lo
	v_add_co_u32 v8, vcc_lo, v9, v8
	v_add_co_ci_u32_e32 v9, vcc_lo, 0, v10, vcc_lo
	v_add_co_u32 v4, vcc_lo, v4, v8
	v_add_co_ci_u32_e32 v11, vcc_lo, v7, v9, vcc_lo
	v_mul_hi_u32 v13, v5, v4
	v_mad_u64_u32 v[9:10], null, v6, v4, 0
	v_mad_u64_u32 v[7:8], null, v5, v11, 0
	;; [unrolled: 1-line block ×3, first 2 shown]
	v_add_co_u32 v4, vcc_lo, v13, v7
	v_add_co_ci_u32_e32 v7, vcc_lo, 0, v8, vcc_lo
	v_add_co_u32 v4, vcc_lo, v4, v9
	v_add_co_ci_u32_e32 v4, vcc_lo, v7, v10, vcc_lo
	v_add_co_ci_u32_e32 v7, vcc_lo, 0, v12, vcc_lo
	v_add_co_u32 v4, vcc_lo, v4, v11
	v_add_co_ci_u32_e32 v9, vcc_lo, 0, v7, vcc_lo
	v_mul_lo_u32 v10, s25, v4
	v_mad_u64_u32 v[7:8], null, s24, v4, 0
	v_mul_lo_u32 v11, s24, v9
	v_sub_co_u32 v7, vcc_lo, v5, v7
	v_add3_u32 v8, v8, v11, v10
	v_sub_nc_u32_e32 v10, v6, v8
	v_subrev_co_ci_u32_e64 v10, s0, s25, v10, vcc_lo
	v_add_co_u32 v11, s0, v4, 2
	v_add_co_ci_u32_e64 v12, s0, 0, v9, s0
	v_sub_co_u32 v13, s0, v7, s24
	v_sub_co_ci_u32_e32 v8, vcc_lo, v6, v8, vcc_lo
	v_subrev_co_ci_u32_e64 v10, s0, 0, v10, s0
	v_cmp_le_u32_e32 vcc_lo, s24, v13
	v_cmp_eq_u32_e64 s0, s25, v8
	v_cndmask_b32_e64 v13, 0, -1, vcc_lo
	v_cmp_le_u32_e32 vcc_lo, s25, v10
	v_cndmask_b32_e64 v14, 0, -1, vcc_lo
	v_cmp_le_u32_e32 vcc_lo, s24, v7
	;; [unrolled: 2-line block ×3, first 2 shown]
	v_cndmask_b32_e64 v15, 0, -1, vcc_lo
	v_cmp_eq_u32_e32 vcc_lo, s25, v10
	v_cndmask_b32_e64 v7, v15, v7, s0
	v_cndmask_b32_e32 v10, v14, v13, vcc_lo
	v_add_co_u32 v13, vcc_lo, v4, 1
	v_add_co_ci_u32_e32 v14, vcc_lo, 0, v9, vcc_lo
	v_cmp_ne_u32_e32 vcc_lo, 0, v10
	v_cndmask_b32_e32 v8, v14, v12, vcc_lo
	v_cndmask_b32_e32 v10, v13, v11, vcc_lo
	v_cmp_ne_u32_e32 vcc_lo, 0, v7
	v_cndmask_b32_e32 v33, v9, v8, vcc_lo
	v_cndmask_b32_e32 v32, v4, v10, vcc_lo
.LBB0_4:                                ;   in Loop: Header=BB0_2 Depth=1
	s_andn2_saveexec_b32 s0, s1
	s_cbranch_execz .LBB0_6
; %bb.5:                                ;   in Loop: Header=BB0_2 Depth=1
	v_cvt_f32_u32_e32 v4, s24
	s_sub_i32 s1, 0, s24
	v_mov_b32_e32 v33, v3
	v_rcp_iflag_f32_e32 v4, v4
	v_mul_f32_e32 v4, 0x4f7ffffe, v4
	v_cvt_u32_f32_e32 v4, v4
	v_mul_lo_u32 v7, s1, v4
	v_mul_hi_u32 v7, v4, v7
	v_add_nc_u32_e32 v4, v4, v7
	v_mul_hi_u32 v4, v5, v4
	v_mul_lo_u32 v7, v4, s24
	v_add_nc_u32_e32 v8, 1, v4
	v_sub_nc_u32_e32 v7, v5, v7
	v_subrev_nc_u32_e32 v9, s24, v7
	v_cmp_le_u32_e32 vcc_lo, s24, v7
	v_cndmask_b32_e32 v7, v7, v9, vcc_lo
	v_cndmask_b32_e32 v4, v4, v8, vcc_lo
	v_cmp_le_u32_e32 vcc_lo, s24, v7
	v_add_nc_u32_e32 v8, 1, v4
	v_cndmask_b32_e32 v32, v4, v8, vcc_lo
.LBB0_6:                                ;   in Loop: Header=BB0_2 Depth=1
	s_or_b32 exec_lo, exec_lo, s0
	v_mul_lo_u32 v4, v33, s24
	v_mul_lo_u32 v9, v32, s25
	s_load_dwordx2 s[0:1], s[6:7], 0x0
	v_mad_u64_u32 v[7:8], null, v32, s24, 0
	s_load_dwordx2 s[24:25], s[2:3], 0x0
	s_add_u32 s22, s22, 1
	s_addc_u32 s23, s23, 0
	s_add_u32 s2, s2, 8
	s_addc_u32 s3, s3, 0
	s_add_u32 s6, s6, 8
	v_add3_u32 v4, v8, v9, v4
	v_sub_co_u32 v5, vcc_lo, v5, v7
	s_addc_u32 s7, s7, 0
	s_add_u32 s20, s20, 8
	v_sub_co_ci_u32_e32 v4, vcc_lo, v6, v4, vcc_lo
	s_addc_u32 s21, s21, 0
	s_waitcnt lgkmcnt(0)
	v_mul_lo_u32 v6, s0, v4
	v_mul_lo_u32 v7, s1, v5
	v_mad_u64_u32 v[1:2], null, s0, v5, v[1:2]
	v_mul_lo_u32 v4, s24, v4
	v_mul_lo_u32 v8, s25, v5
	v_mad_u64_u32 v[28:29], null, s24, v5, v[28:29]
	v_cmp_ge_u64_e64 s0, s[22:23], s[14:15]
	v_add3_u32 v2, v7, v2, v6
	v_add3_u32 v29, v8, v29, v4
	s_and_b32 vcc_lo, exec_lo, s0
	s_cbranch_vccnz .LBB0_9
; %bb.7:                                ;   in Loop: Header=BB0_2 Depth=1
	v_mov_b32_e32 v5, v32
	v_mov_b32_e32 v6, v33
	s_branch .LBB0_2
.LBB0_8:
	v_mov_b32_e32 v29, v2
	v_mov_b32_e32 v33, v6
	;; [unrolled: 1-line block ×4, first 2 shown]
.LBB0_9:
	s_load_dwordx2 s[0:1], s[4:5], 0x28
	v_mul_hi_u32 v3, 0x12f684c, v0
	s_lshl_b64 s[4:5], s[14:15], 3
                                        ; implicit-def: $vgpr30
                                        ; implicit-def: $vgpr4_vgpr5
	s_add_u32 s2, s18, s4
	s_addc_u32 s3, s19, s5
	s_waitcnt lgkmcnt(0)
	v_cmp_gt_u64_e32 vcc_lo, s[0:1], v[32:33]
	v_cmp_le_u64_e64 s0, s[0:1], v[32:33]
	s_and_saveexec_b32 s1, s0
	s_xor_b32 s0, exec_lo, s1
; %bb.10:
	v_mul_u32_u24_e32 v1, 0xd8, v3
	v_mov_b32_e32 v31, 0
                                        ; implicit-def: $vgpr3
	v_sub_nc_u32_e32 v30, v0, v1
                                        ; implicit-def: $vgpr0
                                        ; implicit-def: $vgpr1_vgpr2
	v_mov_b32_e32 v4, v30
	v_mov_b32_e32 v5, v31
; %bb.11:
	s_or_saveexec_b32 s1, s0
	s_load_dwordx2 s[2:3], s[2:3], 0x0
	s_xor_b32 exec_lo, exec_lo, s1
	s_cbranch_execz .LBB0_15
; %bb.12:
	s_add_u32 s4, s16, s4
	s_addc_u32 s5, s17, s5
	v_lshlrev_b64 v[1:2], 4, v[1:2]
	s_load_dwordx2 s[4:5], s[4:5], 0x0
	v_mov_b32_e32 v31, 0
	s_waitcnt lgkmcnt(0)
	v_mul_lo_u32 v6, s5, v32
	v_mul_lo_u32 v7, s4, v33
	v_mad_u64_u32 v[4:5], null, s4, v32, 0
	s_mov_b32 s4, exec_lo
	v_add3_u32 v5, v5, v7, v6
	v_mul_u32_u24_e32 v6, 0xd8, v3
	v_lshlrev_b64 v[3:4], 4, v[4:5]
	v_sub_nc_u32_e32 v30, v0, v6
	v_lshlrev_b32_e32 v62, 4, v30
	v_add_co_u32 v0, s0, s8, v3
	v_add_co_ci_u32_e64 v3, s0, s9, v4, s0
	v_add_co_u32 v0, s0, v0, v1
	v_add_co_ci_u32_e64 v1, s0, v3, v2, s0
	v_add_co_u32 v2, s0, v0, v62
	v_add_co_ci_u32_e64 v3, s0, 0, v1, s0
	v_add_co_u32 v4, s0, 0x800, v2
	v_add_co_ci_u32_e64 v5, s0, 0, v3, s0
	v_add_co_u32 v14, s0, 0x1800, v2
	v_add_co_ci_u32_e64 v15, s0, 0, v3, s0
	v_add_co_u32 v18, s0, 0x2800, v2
	v_add_co_ci_u32_e64 v19, s0, 0, v3, s0
	v_add_co_u32 v22, s0, 0x3000, v2
	v_add_co_ci_u32_e64 v23, s0, 0, v3, s0
	v_add_co_u32 v26, s0, 0x4000, v2
	v_add_co_ci_u32_e64 v27, s0, 0, v3, s0
	v_add_co_u32 v38, s0, 0x5000, v2
	v_add_co_ci_u32_e64 v39, s0, 0, v3, s0
	v_add_co_u32 v42, s0, 0x5800, v2
	v_add_co_ci_u32_e64 v43, s0, 0, v3, s0
	v_add_co_u32 v46, s0, 0x6800, v2
	v_add_co_ci_u32_e64 v47, s0, 0, v3, s0
	s_clause 0x5
	global_load_dwordx4 v[6:9], v[2:3], off
	global_load_dwordx4 v[10:13], v[4:5], off offset:1408
	global_load_dwordx4 v[14:17], v[14:15], off offset:768
	;; [unrolled: 1-line block ×5, first 2 shown]
	v_add_co_u32 v4, s0, 0x7800, v2
	v_add_co_ci_u32_e64 v5, s0, 0, v3, s0
	v_add_co_u32 v26, s0, 0x8000, v2
	v_add_co_ci_u32_e64 v27, s0, 0, v3, s0
	;; [unrolled: 2-line block ×3, first 2 shown]
	s_clause 0x5
	global_load_dwordx4 v[38:41], v[38:39], off offset:256
	global_load_dwordx4 v[42:45], v[42:43], off offset:1664
	;; [unrolled: 1-line block ×6, first 2 shown]
	v_mov_b32_e32 v4, v30
	v_add_nc_u32_e32 v2, 0, v62
	v_mov_b32_e32 v5, v31
	s_waitcnt vmcnt(11)
	ds_write_b128 v2, v[6:9]
	s_waitcnt vmcnt(10)
	ds_write_b128 v2, v[10:13] offset:3456
	s_waitcnt vmcnt(9)
	ds_write_b128 v2, v[14:17] offset:6912
	;; [unrolled: 2-line block ×11, first 2 shown]
	v_cmpx_eq_u32_e32 0xd7, v30
	s_cbranch_execz .LBB0_14
; %bb.13:
	v_add_co_u32 v0, s0, 0xa000, v0
	v_add_co_ci_u32_e64 v1, s0, 0, v1, s0
	v_mov_b32_e32 v4, 0xd7
	v_mov_b32_e32 v5, 0
	;; [unrolled: 1-line block ×3, first 2 shown]
	global_load_dwordx4 v[0:3], v[0:1], off offset:512
	s_waitcnt vmcnt(0)
	ds_write_b128 v31, v[0:3] offset:41472
.LBB0_14:
	s_or_b32 exec_lo, exec_lo, s4
.LBB0_15:
	s_or_b32 exec_lo, exec_lo, s1
	v_lshlrev_b32_e32 v0, 4, v30
	s_waitcnt lgkmcnt(0)
	s_barrier
	buffer_gl0_inv
	v_lshlrev_b64 v[38:39], 4, v[4:5]
	v_add_nc_u32_e32 v31, 0, v0
	v_sub_nc_u32_e32 v10, 0, v0
	s_add_u32 s1, s12, 0xa1a0
	s_addc_u32 s4, s13, 0
	s_mov_b32 s5, exec_lo
	ds_read_b64 v[6:7], v31
	ds_read_b64 v[8:9], v10 offset:41472
	s_waitcnt lgkmcnt(0)
	v_add_f64 v[0:1], v[6:7], v[8:9]
	v_add_f64 v[2:3], v[6:7], -v[8:9]
	v_cmpx_ne_u32_e32 0, v30
	s_xor_b32 s5, exec_lo, s5
	s_cbranch_execz .LBB0_17
; %bb.16:
	v_add_co_u32 v0, s0, s1, v38
	v_add_co_ci_u32_e64 v1, s0, s4, v39, s0
	v_add_f64 v[13:14], v[6:7], v[8:9]
	v_add_f64 v[8:9], v[6:7], -v[8:9]
	global_load_dwordx4 v[2:5], v[0:1], off
	ds_read_b64 v[0:1], v10 offset:41480
	ds_read_b64 v[11:12], v31 offset:8
	s_waitcnt lgkmcnt(0)
	v_add_f64 v[6:7], v[0:1], v[11:12]
	v_add_f64 v[0:1], v[11:12], -v[0:1]
	s_waitcnt vmcnt(0)
	v_fma_f64 v[11:12], v[8:9], v[4:5], v[13:14]
	v_fma_f64 v[13:14], -v[8:9], v[4:5], v[13:14]
	v_fma_f64 v[15:16], v[6:7], v[4:5], -v[0:1]
	v_fma_f64 v[17:18], v[6:7], v[4:5], v[0:1]
	v_fma_f64 v[0:1], -v[6:7], v[2:3], v[11:12]
	v_fma_f64 v[4:5], v[6:7], v[2:3], v[13:14]
	v_fma_f64 v[6:7], v[8:9], v[2:3], v[15:16]
	;; [unrolled: 1-line block ×3, first 2 shown]
	ds_write_b128 v10, v[4:7] offset:41472
.LBB0_17:
	s_andn2_saveexec_b32 s0, s5
	s_cbranch_execz .LBB0_19
; %bb.18:
	v_mov_b32_e32 v8, 0
	ds_read_b128 v[4:7], v8 offset:20736
	s_waitcnt lgkmcnt(0)
	v_add_f64 v[4:5], v[4:5], v[4:5]
	v_mul_f64 v[6:7], v[6:7], -2.0
	ds_write_b128 v8, v[4:7] offset:20736
.LBB0_19:
	s_or_b32 exec_lo, exec_lo, s0
	v_add_nc_u32_e32 v34, 0xd8, v30
	v_mov_b32_e32 v35, 0
	v_add_nc_u32_e32 v8, 0x1b0, v30
	ds_write_b128 v31, v[0:3]
	s_mov_b32 s7, 0xbfebb67a
	v_lshlrev_b64 v[44:45], 4, v[34:35]
	v_mov_b32_e32 v9, v35
	v_lshlrev_b64 v[36:37], 4, v[8:9]
	v_add_co_u32 v4, s0, s1, v44
	v_add_co_ci_u32_e64 v5, s0, s4, v45, s0
	v_add_co_u32 v8, s0, s1, v36
	global_load_dwordx4 v[4:7], v[4:5], off
	v_add_co_ci_u32_e64 v9, s0, s4, v37, s0
	global_load_dwordx4 v[11:14], v[8:9], off
	v_add_nc_u32_e32 v8, 0x288, v30
	v_mov_b32_e32 v9, v35
	v_lshlrev_b64 v[40:41], 4, v[8:9]
	v_add_co_u32 v8, s0, s1, v40
	v_add_co_ci_u32_e64 v9, s0, s4, v41, s0
	global_load_dwordx4 v[15:18], v[8:9], off
	v_add_nc_u32_e32 v8, 0x360, v30
	v_mov_b32_e32 v9, v35
	ds_read_b128 v[0:3], v31 offset:3456
	ds_read_b128 v[19:22], v10 offset:38016
	v_lshlrev_b64 v[42:43], 4, v[8:9]
	v_add_co_u32 v8, s0, s1, v42
	v_add_co_ci_u32_e64 v9, s0, s4, v43, s0
	global_load_dwordx4 v[23:26], v[8:9], off
	s_waitcnt lgkmcnt(0)
	v_add_f64 v[8:9], v[0:1], v[19:20]
	v_add_f64 v[46:47], v[21:22], v[2:3]
	v_add_f64 v[19:20], v[0:1], -v[19:20]
	v_add_f64 v[0:1], v[2:3], -v[21:22]
	s_waitcnt vmcnt(3)
	v_fma_f64 v[2:3], v[19:20], v[6:7], v[8:9]
	v_fma_f64 v[21:22], v[46:47], v[6:7], v[0:1]
	v_fma_f64 v[8:9], -v[19:20], v[6:7], v[8:9]
	v_fma_f64 v[48:49], v[46:47], v[6:7], -v[0:1]
	v_fma_f64 v[0:1], -v[46:47], v[4:5], v[2:3]
	v_fma_f64 v[2:3], v[19:20], v[4:5], v[21:22]
	v_fma_f64 v[6:7], v[46:47], v[4:5], v[8:9]
	;; [unrolled: 1-line block ×3, first 2 shown]
	v_add_nc_u32_e32 v4, 0x438, v30
	v_mov_b32_e32 v5, v35
	ds_write_b128 v31, v[0:3] offset:3456
	ds_write_b128 v10, v[6:9] offset:38016
	v_lshlrev_b64 v[46:47], 4, v[4:5]
	ds_read_b128 v[0:3], v31 offset:6912
	ds_read_b128 v[4:7], v10 offset:34560
	v_add_co_u32 v19, s0, s1, v46
	v_add_co_ci_u32_e64 v20, s0, s4, v47, s0
	s_mov_b32 s4, 0xe8584caa
	s_mov_b32 s5, 0x3febb67a
	;; [unrolled: 1-line block ×3, first 2 shown]
	global_load_dwordx4 v[19:22], v[19:20], off
	s_waitcnt lgkmcnt(0)
	v_add_f64 v[8:9], v[0:1], v[4:5]
	v_add_f64 v[48:49], v[6:7], v[2:3]
	v_add_f64 v[50:51], v[0:1], -v[4:5]
	v_add_f64 v[0:1], v[2:3], -v[6:7]
	s_waitcnt vmcnt(3)
	v_fma_f64 v[2:3], v[50:51], v[13:14], v[8:9]
	v_fma_f64 v[4:5], v[48:49], v[13:14], v[0:1]
	v_fma_f64 v[6:7], -v[50:51], v[13:14], v[8:9]
	v_fma_f64 v[8:9], v[48:49], v[13:14], -v[0:1]
	v_fma_f64 v[0:1], -v[48:49], v[11:12], v[2:3]
	v_fma_f64 v[2:3], v[50:51], v[11:12], v[4:5]
	v_fma_f64 v[4:5], v[48:49], v[11:12], v[6:7]
	v_fma_f64 v[6:7], v[50:51], v[11:12], v[8:9]
	ds_write_b128 v31, v[0:3] offset:6912
	ds_write_b128 v10, v[4:7] offset:34560
	ds_read_b128 v[0:3], v31 offset:10368
	ds_read_b128 v[4:7], v10 offset:31104
	s_waitcnt lgkmcnt(0)
	v_add_f64 v[8:9], v[0:1], v[4:5]
	v_add_f64 v[11:12], v[6:7], v[2:3]
	v_add_f64 v[13:14], v[0:1], -v[4:5]
	v_add_f64 v[0:1], v[2:3], -v[6:7]
	s_waitcnt vmcnt(2)
	v_fma_f64 v[2:3], v[13:14], v[17:18], v[8:9]
	v_fma_f64 v[4:5], v[11:12], v[17:18], v[0:1]
	v_fma_f64 v[6:7], -v[13:14], v[17:18], v[8:9]
	v_fma_f64 v[8:9], v[11:12], v[17:18], -v[0:1]
	v_fma_f64 v[0:1], -v[11:12], v[15:16], v[2:3]
	v_fma_f64 v[2:3], v[13:14], v[15:16], v[4:5]
	v_fma_f64 v[4:5], v[11:12], v[15:16], v[6:7]
	v_fma_f64 v[6:7], v[13:14], v[15:16], v[8:9]
	ds_write_b128 v31, v[0:3] offset:10368
	ds_write_b128 v10, v[4:7] offset:31104
	ds_read_b128 v[0:3], v31 offset:13824
	ds_read_b128 v[4:7], v10 offset:27648
	;; [unrolled: 18-line block ×3, first 2 shown]
	s_waitcnt lgkmcnt(0)
	v_add_f64 v[8:9], v[0:1], v[4:5]
	v_add_f64 v[11:12], v[6:7], v[2:3]
	v_add_f64 v[13:14], v[0:1], -v[4:5]
	v_add_f64 v[0:1], v[2:3], -v[6:7]
	s_waitcnt vmcnt(0)
	v_fma_f64 v[2:3], v[13:14], v[21:22], v[8:9]
	v_fma_f64 v[4:5], v[11:12], v[21:22], v[0:1]
	v_fma_f64 v[6:7], -v[13:14], v[21:22], v[8:9]
	v_fma_f64 v[8:9], v[11:12], v[21:22], -v[0:1]
	v_fma_f64 v[0:1], -v[11:12], v[19:20], v[2:3]
	v_fma_f64 v[2:3], v[13:14], v[19:20], v[4:5]
	v_fma_f64 v[4:5], v[11:12], v[19:20], v[6:7]
	;; [unrolled: 1-line block ×3, first 2 shown]
	ds_write_b128 v31, v[0:3] offset:17280
	ds_write_b128 v10, v[4:7] offset:24192
	s_waitcnt lgkmcnt(0)
	s_barrier
	buffer_gl0_inv
	s_barrier
	buffer_gl0_inv
	ds_read_b128 v[4:7], v31 offset:34560
	ds_read_b128 v[0:3], v31 offset:20736
	;; [unrolled: 1-line block ×5, first 2 shown]
	ds_read_b128 v[20:23], v31
	ds_read_b128 v[24:27], v31 offset:6912
	ds_read_b128 v[48:51], v31 offset:27648
	ds_read_b128 v[52:55], v31 offset:10368
	ds_read_b128 v[56:59], v31 offset:3456
	ds_read_b128 v[60:63], v31 offset:17280
	ds_read_b128 v[64:67], v31 offset:31104
	s_waitcnt lgkmcnt(0)
	s_barrier
	buffer_gl0_inv
	v_add_f64 v[68:69], v[0:1], v[4:5]
	v_add_f64 v[70:71], v[2:3], v[6:7]
	;; [unrolled: 1-line block ×4, first 2 shown]
	v_add_f64 v[78:79], v[2:3], -v[6:7]
	v_add_f64 v[80:81], v[0:1], -v[4:5]
	;; [unrolled: 1-line block ×4, first 2 shown]
	v_add_f64 v[82:83], v[22:23], v[18:19]
	v_add_f64 v[84:85], v[16:17], v[48:49]
	v_add_f64 v[86:87], v[18:19], -v[50:51]
	v_add_f64 v[18:19], v[18:19], v[50:51]
	v_add_f64 v[76:77], v[20:21], v[16:17]
	v_add_f64 v[94:95], v[58:59], v[62:63]
	v_add_f64 v[8:9], v[52:53], v[8:9]
	v_add_f64 v[10:11], v[54:55], v[10:11]
	v_add_f64 v[92:93], v[56:57], v[60:61]
	v_add_f64 v[16:17], v[16:17], -v[48:49]
	v_fma_f64 v[68:69], v[68:69], -0.5, v[24:25]
	v_fma_f64 v[70:71], v[70:71], -0.5, v[26:27]
	;; [unrolled: 1-line block ×4, first 2 shown]
	v_add_f64 v[52:53], v[60:61], v[64:65]
	v_add_f64 v[54:55], v[62:63], -v[66:67]
	v_add_f64 v[62:63], v[62:63], v[66:67]
	v_add_f64 v[24:25], v[24:25], v[0:1]
	;; [unrolled: 1-line block ×3, first 2 shown]
	v_fma_f64 v[20:21], v[84:85], -0.5, v[20:21]
	v_add_f64 v[50:51], v[82:83], v[50:51]
	v_fma_f64 v[18:19], v[18:19], -0.5, v[22:23]
	v_add_f64 v[48:49], v[76:77], v[48:49]
	v_add_f64 v[60:61], v[60:61], -v[64:65]
	v_add_f64 v[66:67], v[94:95], v[66:67]
	v_and_b32_e32 v3, 0xff, v30
	v_add_f64 v[64:65], v[92:93], v[64:65]
	v_add_f64 v[92:93], v[10:11], v[14:15]
	v_mul_lo_u16 v0, 0xab, v3
	v_mul_lo_u16 v3, v3, 57
	v_fma_f64 v[96:97], v[78:79], s[4:5], v[68:69]
	v_fma_f64 v[68:69], v[78:79], s[6:7], v[68:69]
	;; [unrolled: 1-line block ×8, first 2 shown]
	v_fma_f64 v[52:53], v[52:53], -0.5, v[56:57]
	v_fma_f64 v[56:57], v[62:63], -0.5, v[58:59]
	v_add_f64 v[24:25], v[24:25], v[4:5]
	v_add_f64 v[26:27], v[26:27], v[6:7]
	;; [unrolled: 1-line block ×3, first 2 shown]
	v_fma_f64 v[94:95], v[86:87], s[4:5], v[20:21]
	v_fma_f64 v[98:99], v[16:17], s[6:7], v[18:19]
	v_lshrrev_b16 v1, 10, v0
	v_mov_b32_e32 v0, 5
	v_add_f64 v[14:15], v[66:67], v[92:93]
	v_mul_lo_u16 v2, v1, 6
	v_mul_f64 v[84:85], v[96:97], s[6:7]
	v_mul_f64 v[76:77], v[68:69], -0.5
	v_mul_f64 v[22:23], v[78:79], s[4:5]
	v_mul_f64 v[82:83], v[70:71], -0.5
	;; [unrolled: 2-line block ×4, first 2 shown]
	v_sub_nc_u16 v2, v30, v2
	v_fma_f64 v[100:101], v[60:61], s[4:5], v[56:57]
	v_add_f64 v[8:9], v[48:49], -v[24:25]
	v_add_f64 v[10:11], v[50:51], -v[26:27]
	v_add_f64 v[12:13], v[64:65], v[90:91]
	v_fma_f64 v[78:79], v[78:79], 0.5, v[84:85]
	v_fma_f64 v[84:85], v[86:87], s[6:7], v[20:21]
	v_fma_f64 v[96:97], v[96:97], 0.5, v[22:23]
	v_fma_f64 v[86:87], v[16:17], s[4:5], v[18:19]
	v_fma_f64 v[70:71], v[70:71], s[4:5], v[76:77]
	;; [unrolled: 1-line block ×5, first 2 shown]
	v_fma_f64 v[80:81], v[80:81], 0.5, v[58:59]
	v_fma_f64 v[62:63], v[88:89], 0.5, v[62:63]
	v_fma_f64 v[88:89], v[54:55], s[6:7], v[52:53]
	v_fma_f64 v[74:75], v[74:75], s[4:5], v[4:5]
	;; [unrolled: 1-line block ×3, first 2 shown]
	v_add_f64 v[4:5], v[48:49], v[24:25]
	v_add_f64 v[6:7], v[50:51], v[26:27]
	v_add_f64 v[16:17], v[64:65], -v[90:91]
	v_add_f64 v[18:19], v[66:67], -v[92:93]
	v_add_f64 v[22:23], v[98:99], v[78:79]
	v_add_f64 v[26:27], v[98:99], -v[78:79]
	v_add_f64 v[20:21], v[94:95], v[96:97]
	;; [unrolled: 2-line block ×3, first 2 shown]
	v_add_f64 v[50:51], v[86:87], v[68:69]
	v_add_f64 v[52:53], v[84:85], -v[70:71]
	v_add_f64 v[54:55], v[86:87], -v[68:69]
	v_add_f64 v[56:57], v[76:77], v[80:81]
	v_add_f64 v[58:59], v[82:83], v[62:63]
	v_add_f64 v[60:61], v[76:77], -v[80:81]
	v_add_f64 v[64:65], v[88:89], v[74:75]
	v_add_f64 v[66:67], v[100:101], v[72:73]
	v_add_f64 v[62:63], v[82:83], -v[62:63]
	v_add_f64 v[68:69], v[88:89], -v[74:75]
	;; [unrolled: 1-line block ×3, first 2 shown]
	v_mul_u32_u24_sdwa v72, v2, v0 dst_sel:DWORD dst_unused:UNUSED_PAD src0_sel:BYTE_0 src1_sel:DWORD
	v_mad_u32_u24 v73, 0x50, v30, v31
	ds_write_b128 v73, v[4:7]
	ds_write_b128 v73, v[8:11] offset:48
	ds_write_b128 v73, v[12:15] offset:20736
	;; [unrolled: 1-line block ×11, first 2 shown]
	v_lshlrev_b32_e32 v72, 4, v72
	s_waitcnt lgkmcnt(0)
	s_barrier
	buffer_gl0_inv
	s_clause 0x2
	global_load_dwordx4 v[6:9], v72, s[12:13]
	global_load_dwordx4 v[10:13], v72, s[12:13] offset:16
	global_load_dwordx4 v[14:17], v72, s[12:13] offset:32
	v_mov_b32_e32 v4, 0xaaab
	global_load_dwordx4 v[18:21], v72, s[12:13] offset:64
	v_mul_u32_u24_sdwa v4, v34, v4 dst_sel:DWORD dst_unused:UNUSED_PAD src0_sel:WORD_0 src1_sel:DWORD
	v_lshrrev_b32_e32 v5, 18, v4
	v_mul_lo_u16 v4, v5, 6
	v_sub_nc_u16 v4, v34, v4
	v_mul_u32_u24_sdwa v22, v4, v0 dst_sel:DWORD dst_unused:UNUSED_PAD src0_sel:WORD_0 src1_sel:DWORD
	v_lshlrev_b32_e32 v26, 4, v22
	s_clause 0x5
	global_load_dwordx4 v[22:25], v26, s[12:13] offset:32
	global_load_dwordx4 v[48:51], v26, s[12:13] offset:64
	;; [unrolled: 1-line block ×3, first 2 shown]
	global_load_dwordx4 v[56:59], v26, s[12:13]
	global_load_dwordx4 v[60:63], v26, s[12:13] offset:16
	global_load_dwordx4 v[64:67], v26, s[12:13] offset:48
	ds_read_b128 v[68:71], v31 offset:6912
	ds_read_b128 v[72:75], v31 offset:13824
	;; [unrolled: 1-line block ×5, first 2 shown]
	s_waitcnt vmcnt(9) lgkmcnt(4)
	v_mul_f64 v[26:27], v[70:71], v[8:9]
	v_mul_f64 v[8:9], v[68:69], v[8:9]
	s_waitcnt vmcnt(8) lgkmcnt(3)
	v_mul_f64 v[88:89], v[74:75], v[12:13]
	v_mul_f64 v[12:13], v[72:73], v[12:13]
	;; [unrolled: 3-line block ×3, first 2 shown]
	v_fma_f64 v[26:27], v[68:69], v[6:7], -v[26:27]
	v_fma_f64 v[90:91], v[70:71], v[6:7], v[8:9]
	ds_read_b128 v[6:9], v31 offset:24192
	v_fma_f64 v[72:73], v[72:73], v[10:11], -v[88:89]
	v_fma_f64 v[74:75], v[74:75], v[10:11], v[12:13]
	ds_read_b128 v[10:13], v31 offset:34560
	ds_read_b128 v[68:71], v31 offset:38016
	v_fma_f64 v[84:85], v[84:85], v[14:15], -v[92:93]
	v_fma_f64 v[14:15], v[86:87], v[14:15], v[16:17]
	s_waitcnt vmcnt(5) lgkmcnt(2)
	v_mul_f64 v[86:87], v[8:9], v[24:25]
	v_mul_f64 v[24:25], v[6:7], v[24:25]
	s_waitcnt lgkmcnt(1)
	v_mul_f64 v[16:17], v[12:13], v[20:21]
	v_mul_f64 v[20:21], v[10:11], v[20:21]
	s_waitcnt vmcnt(4) lgkmcnt(0)
	v_mul_f64 v[88:89], v[70:71], v[50:51]
	v_mul_f64 v[50:51], v[68:69], v[50:51]
	v_fma_f64 v[86:87], v[6:7], v[22:23], -v[86:87]
	v_fma_f64 v[16:17], v[10:11], v[18:19], -v[16:17]
	v_fma_f64 v[19:20], v[12:13], v[18:19], v[20:21]
	ds_read_b128 v[10:13], v31 offset:27648
	v_fma_f64 v[21:22], v[8:9], v[22:23], v[24:25]
	ds_read_b128 v[6:9], v31 offset:31104
	v_fma_f64 v[68:69], v[68:69], v[48:49], -v[88:89]
	v_fma_f64 v[48:49], v[70:71], v[48:49], v[50:51]
	s_waitcnt vmcnt(2)
	v_mul_f64 v[50:51], v[78:79], v[58:59]
	v_mul_f64 v[58:59], v[76:77], v[58:59]
	s_waitcnt vmcnt(1)
	v_mul_f64 v[70:71], v[82:83], v[62:63]
	v_mul_f64 v[62:63], v[80:81], v[62:63]
	v_lshrrev_b16 v18, 11, v3
	v_mov_b32_e32 v3, 0x240
	v_mul_u32_u24_sdwa v1, v1, v3 dst_sel:DWORD dst_unused:UNUSED_PAD src0_sel:WORD_0 src1_sel:DWORD
	v_mul_u32_u24_e32 v3, 0x240, v5
	s_waitcnt lgkmcnt(1)
	v_mul_f64 v[23:24], v[12:13], v[54:55]
	v_mul_f64 v[54:55], v[10:11], v[54:55]
	v_add_f64 v[88:89], v[14:15], v[19:20]
	v_add_f64 v[92:93], v[84:85], v[16:17]
	v_add_f64 v[94:95], v[86:87], -v[68:69]
	v_fma_f64 v[50:51], v[76:77], v[56:57], -v[50:51]
	v_fma_f64 v[56:57], v[78:79], v[56:57], v[58:59]
	v_add_f64 v[58:59], v[86:87], v[68:69]
	v_add_f64 v[76:77], v[21:22], v[48:49]
	v_fma_f64 v[70:71], v[80:81], v[60:61], -v[70:71]
	v_fma_f64 v[60:61], v[82:83], v[60:61], v[62:63]
	v_add_f64 v[78:79], v[84:85], -v[16:17]
	v_add_f64 v[80:81], v[14:15], -v[19:20]
	v_add_f64 v[14:15], v[90:91], v[14:15]
	v_fma_f64 v[23:24], v[10:11], v[52:53], -v[23:24]
	v_fma_f64 v[52:53], v[12:13], v[52:53], v[54:55]
	s_waitcnt vmcnt(0) lgkmcnt(0)
	v_mul_f64 v[54:55], v[8:9], v[66:67]
	v_mul_f64 v[66:67], v[6:7], v[66:67]
	v_fma_f64 v[82:83], v[88:89], -0.5, v[90:91]
	v_fma_f64 v[88:89], v[92:93], -0.5, v[26:27]
	ds_read_b128 v[10:13], v31
	v_add_f64 v[92:93], v[21:22], -v[48:49]
	v_add_f64 v[25:26], v[26:27], v[84:85]
	v_fma_f64 v[58:59], v[58:59], -0.5, v[50:51]
	v_fma_f64 v[76:77], v[76:77], -0.5, v[56:57]
	v_add_f64 v[50:51], v[50:51], v[86:87]
	v_add_f64 v[21:22], v[56:57], v[21:22]
	v_mul_lo_u16 v27, v18, 36
	v_add_f64 v[14:15], v[14:15], v[19:20]
	v_fma_f64 v[54:55], v[6:7], v[64:65], -v[54:55]
	v_fma_f64 v[62:63], v[8:9], v[64:65], v[66:67]
	ds_read_b128 v[6:9], v31 offset:3456
	v_add_f64 v[64:65], v[72:73], v[23:24]
	v_add_f64 v[66:67], v[74:75], v[52:53]
	s_waitcnt lgkmcnt(1)
	v_add_f64 v[84:85], v[10:11], v[72:73]
	v_add_f64 v[90:91], v[12:13], v[74:75]
	v_add_f64 v[72:73], v[72:73], -v[23:24]
	v_add_f64 v[74:75], v[74:75], -v[52:53]
	v_add_f64 v[50:51], v[50:51], v[68:69]
	v_add_f64 v[25:26], v[25:26], v[16:17]
	;; [unrolled: 1-line block ×3, first 2 shown]
	v_mov_b32_e32 v16, 4
	v_sub_nc_u16 v17, v30, v27
	s_waitcnt lgkmcnt(0)
	s_barrier
	buffer_gl0_inv
	v_lshlrev_b32_sdwa v2, v16, v2 dst_sel:DWORD dst_unused:UNUSED_PAD src0_sel:DWORD src1_sel:BYTE_0
	v_lshlrev_b32_sdwa v4, v16, v4 dst_sel:DWORD dst_unused:UNUSED_PAD src0_sel:DWORD src1_sel:WORD_0
	v_mul_u32_u24_e32 v27, 5, v30
	v_add_f64 v[86:87], v[70:71], v[54:55]
	v_add_f64 v[56:57], v[60:61], v[62:63]
	v_add3_u32 v1, 0, v1, v2
	v_fma_f64 v[10:11], v[64:65], -0.5, v[10:11]
	v_fma_f64 v[12:13], v[66:67], -0.5, v[12:13]
	v_fma_f64 v[64:65], v[78:79], s[6:7], v[82:83]
	v_fma_f64 v[66:67], v[80:81], s[4:5], v[88:89]
	;; [unrolled: 1-line block ×4, first 2 shown]
	v_add_f64 v[88:89], v[6:7], v[70:71]
	v_fma_f64 v[82:83], v[92:93], s[4:5], v[58:59]
	v_fma_f64 v[58:59], v[92:93], s[6:7], v[58:59]
	;; [unrolled: 1-line block ×4, first 2 shown]
	v_add_f64 v[94:95], v[8:9], v[60:61]
	v_add_f64 v[23:24], v[84:85], v[23:24]
	v_add_f64 v[60:61], v[60:61], -v[62:63]
	v_add_f64 v[70:71], v[70:71], -v[54:55]
	v_add_f64 v[52:53], v[90:91], v[52:53]
	v_add3_u32 v2, 0, v3, v4
	v_lshlrev_b32_e32 v27, 4, v27
	v_fma_f64 v[6:7], v[86:87], -0.5, v[6:7]
	v_fma_f64 v[8:9], v[56:57], -0.5, v[8:9]
	v_fma_f64 v[96:97], v[74:75], s[4:5], v[10:11]
	v_fma_f64 v[98:99], v[72:73], s[6:7], v[12:13]
	v_mul_f64 v[19:20], v[64:65], s[4:5]
	v_mul_f64 v[84:85], v[66:67], s[6:7]
	v_mul_f64 v[56:57], v[80:81], -0.5
	v_mul_f64 v[86:87], v[78:79], -0.5
	v_add_f64 v[54:55], v[88:89], v[54:55]
	v_mul_f64 v[90:91], v[82:83], s[6:7]
	v_mul_f64 v[68:69], v[58:59], -0.5
	v_mul_f64 v[88:89], v[92:93], s[4:5]
	v_fma_f64 v[74:75], v[74:75], s[6:7], v[10:11]
	v_add_f64 v[62:63], v[94:95], v[62:63]
	v_mul_f64 v[94:95], v[76:77], -0.5
	v_fma_f64 v[72:73], v[72:73], s[4:5], v[12:13]
	v_mul_u32_u24_sdwa v13, v17, v0 dst_sel:DWORD dst_unused:UNUSED_PAD src0_sel:BYTE_0 src1_sel:DWORD
	v_add_f64 v[11:12], v[52:53], -v[14:15]
	v_fma_f64 v[100:101], v[60:61], s[6:7], v[6:7]
	v_lshlrev_b32_e32 v13, 4, v13
	v_fma_f64 v[66:67], v[66:67], 0.5, v[19:20]
	v_fma_f64 v[64:65], v[64:65], 0.5, v[84:85]
	v_fma_f64 v[78:79], v[78:79], s[4:5], v[56:57]
	v_fma_f64 v[80:81], v[80:81], s[6:7], v[86:87]
	;; [unrolled: 1-line block ×5, first 2 shown]
	v_fma_f64 v[82:83], v[82:83], 0.5, v[88:89]
	v_fma_f64 v[88:89], v[92:93], 0.5, v[90:91]
	v_fma_f64 v[90:91], v[70:71], s[4:5], v[8:9]
	v_fma_f64 v[92:93], v[58:59], s[6:7], v[94:95]
	v_add_f64 v[5:6], v[23:24], v[25:26]
	v_add_f64 v[7:8], v[52:53], v[14:15]
	v_add_f64 v[9:10], v[23:24], -v[25:26]
	v_add_f64 v[19:20], v[54:55], v[50:51]
	v_add_f64 v[21:22], v[62:63], v[48:49]
	v_add_f64 v[23:24], v[54:55], -v[50:51]
	v_add_f64 v[25:26], v[62:63], -v[48:49]
	v_add_f64 v[48:49], v[96:97], v[66:67]
	v_add_f64 v[50:51], v[98:99], v[64:65]
	;; [unrolled: 1-line block ×4, first 2 shown]
	v_add_f64 v[52:53], v[96:97], -v[66:67]
	v_add_f64 v[54:55], v[98:99], -v[64:65]
	;; [unrolled: 1-line block ×4, first 2 shown]
	v_add_f64 v[64:65], v[84:85], v[82:83]
	v_add_f64 v[66:67], v[86:87], v[88:89]
	v_add_f64 v[72:73], v[100:101], v[76:77]
	v_add_f64 v[74:75], v[90:91], v[92:93]
	v_add_f64 v[68:69], v[84:85], -v[82:83]
	v_add_f64 v[70:71], v[86:87], -v[88:89]
	;; [unrolled: 1-line block ×4, first 2 shown]
	ds_write_b128 v1, v[5:8]
	ds_write_b128 v1, v[9:12] offset:288
	ds_write_b128 v1, v[48:51] offset:96
	;; [unrolled: 1-line block ×5, first 2 shown]
	ds_write_b128 v2, v[19:22]
	ds_write_b128 v2, v[64:67] offset:96
	ds_write_b128 v2, v[72:75] offset:192
	;; [unrolled: 1-line block ×5, first 2 shown]
	s_waitcnt lgkmcnt(0)
	s_barrier
	buffer_gl0_inv
	s_clause 0x2
	global_load_dwordx4 v[1:4], v13, s[12:13] offset:480
	global_load_dwordx4 v[5:8], v13, s[12:13] offset:496
	;; [unrolled: 1-line block ×3, first 2 shown]
	v_mov_b32_e32 v9, 0xe38f
	global_load_dwordx4 v[48:51], v13, s[12:13] offset:544
	v_mul_u32_u24_sdwa v9, v34, v9 dst_sel:DWORD dst_unused:UNUSED_PAD src0_sel:WORD_0 src1_sel:DWORD
	v_lshrrev_b32_e32 v20, 21, v9
	v_mul_lo_u16 v9, v20, 36
	v_mul_u32_u24_e32 v105, 0xd80, v20
	v_sub_nc_u16 v19, v34, v9
	v_mov_b32_e32 v34, 0xd80
	v_mul_u32_u24_sdwa v0, v19, v0 dst_sel:DWORD dst_unused:UNUSED_PAD src0_sel:WORD_0 src1_sel:DWORD
	v_mul_u32_u24_sdwa v18, v18, v34 dst_sel:DWORD dst_unused:UNUSED_PAD src0_sel:WORD_0 src1_sel:DWORD
	v_add_co_u32 v34, s0, s12, v27
	v_add_co_ci_u32_e64 v104, null, s13, 0, s0
	v_lshlrev_b32_e32 v0, 4, v0
	s_clause 0x5
	global_load_dwordx4 v[52:55], v0, s[12:13] offset:512
	global_load_dwordx4 v[56:59], v0, s[12:13] offset:544
	;; [unrolled: 1-line block ×6, first 2 shown]
	ds_read_b128 v[9:12], v31 offset:6912
	ds_read_b128 v[76:79], v31 offset:13824
	;; [unrolled: 1-line block ×5, first 2 shown]
	v_lshlrev_b32_sdwa v19, v16, v19 dst_sel:DWORD dst_unused:UNUSED_PAD src0_sel:DWORD src1_sel:WORD_0
	v_add3_u32 v19, 0, v105, v19
	s_waitcnt vmcnt(9) lgkmcnt(4)
	v_mul_f64 v[13:14], v[11:12], v[3:4]
	v_mul_f64 v[3:4], v[9:10], v[3:4]
	s_waitcnt vmcnt(8) lgkmcnt(3)
	v_mul_f64 v[25:26], v[78:79], v[7:8]
	v_mul_f64 v[92:93], v[76:77], v[7:8]
	;; [unrolled: 3-line block ×3, first 2 shown]
	v_fma_f64 v[14:15], v[9:10], v[1:2], -v[13:14]
	v_fma_f64 v[12:13], v[11:12], v[1:2], v[3:4]
	ds_read_b128 v[8:11], v31 offset:24192
	v_fma_f64 v[0:1], v[76:77], v[5:6], -v[25:26]
	v_fma_f64 v[2:3], v[78:79], v[5:6], v[92:93]
	ds_read_b128 v[4:7], v31 offset:34560
	ds_read_b128 v[23:26], v31 offset:38016
	v_fma_f64 v[78:79], v[88:89], v[21:22], -v[94:95]
	v_fma_f64 v[88:89], v[90:91], v[21:22], v[96:97]
	s_waitcnt vmcnt(2)
	v_mul_f64 v[94:95], v[82:83], v[66:67]
	s_waitcnt lgkmcnt(2)
	v_mul_f64 v[90:91], v[10:11], v[54:55]
	v_mul_f64 v[54:55], v[8:9], v[54:55]
	s_waitcnt lgkmcnt(1)
	v_mul_f64 v[76:77], v[6:7], v[50:51]
	v_mul_f64 v[21:22], v[4:5], v[50:51]
	v_fma_f64 v[4:5], v[4:5], v[48:49], -v[76:77]
	v_fma_f64 v[6:7], v[6:7], v[48:49], v[21:22]
	ds_read_b128 v[48:51], v31 offset:27648
	s_waitcnt lgkmcnt(1)
	v_mul_f64 v[21:22], v[25:26], v[58:59]
	v_mul_f64 v[58:59], v[23:24], v[58:59]
	v_fma_f64 v[76:77], v[8:9], v[52:53], -v[90:91]
	v_fma_f64 v[90:91], v[10:11], v[52:53], v[54:55]
	ds_read_b128 v[52:55], v31 offset:31104
	s_waitcnt lgkmcnt(1)
	v_mul_f64 v[92:93], v[50:51], v[62:63]
	v_mul_f64 v[62:63], v[48:49], v[62:63]
	v_fma_f64 v[8:9], v[23:24], v[56:57], -v[21:22]
	v_fma_f64 v[10:11], v[25:26], v[56:57], v[58:59]
	v_mul_f64 v[21:22], v[80:81], v[66:67]
	s_waitcnt vmcnt(1)
	v_mul_f64 v[23:24], v[86:87], v[70:71]
	v_mul_f64 v[25:26], v[84:85], v[70:71]
	s_waitcnt vmcnt(0) lgkmcnt(0)
	v_mul_f64 v[56:57], v[54:55], v[74:75]
	v_fma_f64 v[66:67], v[80:81], v[64:65], -v[94:95]
	v_fma_f64 v[58:59], v[48:49], v[60:61], -v[92:93]
	v_fma_f64 v[60:61], v[50:51], v[60:61], v[62:63]
	v_mul_f64 v[48:49], v[52:53], v[74:75]
	v_add_f64 v[50:51], v[78:79], v[4:5]
	v_add_f64 v[62:63], v[88:89], v[6:7]
	;; [unrolled: 1-line block ×3, first 2 shown]
	v_fma_f64 v[64:65], v[82:83], v[64:65], v[21:22]
	v_add_f64 v[74:75], v[90:91], v[10:11]
	v_fma_f64 v[80:81], v[84:85], v[68:69], -v[23:24]
	v_fma_f64 v[25:26], v[86:87], v[68:69], v[25:26]
	v_fma_f64 v[52:53], v[52:53], v[72:73], -v[56:57]
	v_add_f64 v[84:85], v[78:79], -v[4:5]
	ds_read_b128 v[21:24], v31
	v_add_f64 v[86:87], v[90:91], -v[10:11]
	v_add_f64 v[92:93], v[76:77], -v[8:9]
	v_add_f64 v[56:57], v[0:1], v[58:59]
	v_add_f64 v[68:69], v[2:3], v[60:61]
	v_fma_f64 v[54:55], v[54:55], v[72:73], v[48:49]
	v_add_f64 v[72:73], v[88:89], -v[6:7]
	v_fma_f64 v[82:83], v[50:51], -0.5, v[14:15]
	ds_read_b128 v[48:51], v31 offset:3456
	v_fma_f64 v[62:63], v[62:63], -0.5, v[12:13]
	v_fma_f64 v[70:71], v[70:71], -0.5, v[66:67]
	;; [unrolled: 1-line block ×3, first 2 shown]
	v_add_f64 v[14:15], v[14:15], v[78:79]
	s_waitcnt lgkmcnt(1)
	v_add_f64 v[78:79], v[21:22], v[0:1]
	v_add_f64 v[12:13], v[12:13], v[88:89]
	;; [unrolled: 1-line block ×6, first 2 shown]
	v_add_f64 v[2:3], v[2:3], -v[60:61]
	v_add_f64 v[0:1], v[0:1], -v[58:59]
	s_waitcnt lgkmcnt(0)
	s_barrier
	buffer_gl0_inv
	v_fma_f64 v[21:22], v[56:57], -0.5, v[21:22]
	v_fma_f64 v[23:24], v[68:69], -0.5, v[23:24]
	v_add_f64 v[90:91], v[25:26], v[54:55]
	v_fma_f64 v[56:57], v[72:73], s[4:5], v[82:83]
	v_fma_f64 v[68:69], v[72:73], s[6:7], v[82:83]
	;; [unrolled: 1-line block ×4, first 2 shown]
	v_add_f64 v[82:83], v[48:49], v[80:81]
	v_fma_f64 v[84:85], v[86:87], s[4:5], v[70:71]
	v_fma_f64 v[70:71], v[86:87], s[6:7], v[70:71]
	;; [unrolled: 1-line block ×4, first 2 shown]
	v_add_f64 v[92:93], v[50:51], v[25:26]
	v_add_f64 v[4:5], v[14:15], v[4:5]
	;; [unrolled: 1-line block ×4, first 2 shown]
	v_fma_f64 v[48:49], v[76:77], -0.5, v[48:49]
	v_add_f64 v[25:26], v[25:26], -v[54:55]
	v_add_f64 v[80:81], v[80:81], -v[52:53]
	v_add_f64 v[60:61], v[88:89], v[60:61]
	v_add_f64 v[66:67], v[66:67], v[8:9]
	v_fma_f64 v[94:95], v[2:3], s[4:5], v[21:22]
	v_fma_f64 v[98:99], v[0:1], s[6:7], v[23:24]
	v_fma_f64 v[50:51], v[90:91], -0.5, v[50:51]
	v_fma_f64 v[96:97], v[2:3], s[6:7], v[21:22]
	v_mul_f64 v[14:15], v[56:57], s[6:7]
	v_mul_f64 v[76:77], v[68:69], -0.5
	v_mul_f64 v[12:13], v[72:73], s[4:5]
	v_mul_f64 v[78:79], v[62:63], -0.5
	v_add_f64 v[52:53], v[82:83], v[52:53]
	v_mul_f64 v[88:89], v[84:85], s[6:7]
	v_mul_f64 v[90:91], v[70:71], -0.5
	v_mul_f64 v[82:83], v[86:87], s[4:5]
	v_fma_f64 v[100:101], v[0:1], s[4:5], v[23:24]
	v_add_f64 v[54:55], v[92:93], v[54:55]
	v_mul_f64 v[92:93], v[74:75], -0.5
	v_add_f64 v[64:65], v[64:65], v[10:11]
	v_add_f64 v[0:1], v[58:59], v[4:5]
	v_add_f64 v[4:5], v[58:59], -v[4:5]
	v_fma_f64 v[102:103], v[25:26], s[4:5], v[48:49]
	v_add_f64 v[2:3], v[60:61], v[6:7]
	v_add_f64 v[6:7], v[60:61], -v[6:7]
	v_fma_f64 v[72:73], v[72:73], 0.5, v[14:15]
	v_fma_f64 v[62:63], v[62:63], s[4:5], v[76:77]
	v_fma_f64 v[56:57], v[56:57], 0.5, v[12:13]
	v_fma_f64 v[68:69], v[68:69], s[6:7], v[78:79]
	v_fma_f64 v[78:79], v[80:81], s[6:7], v[50:51]
	;; [unrolled: 1-line block ×4, first 2 shown]
	v_fma_f64 v[82:83], v[84:85], 0.5, v[82:83]
	v_fma_f64 v[84:85], v[86:87], 0.5, v[88:89]
	v_fma_f64 v[74:75], v[74:75], s[4:5], v[90:91]
	v_fma_f64 v[70:71], v[70:71], s[6:7], v[92:93]
	v_add_f64 v[8:9], v[52:53], v[66:67]
	v_add_f64 v[10:11], v[54:55], v[64:65]
	v_add_f64 v[12:13], v[52:53], -v[66:67]
	v_add_f64 v[14:15], v[54:55], -v[64:65]
	v_lshlrev_b32_sdwa v86, v16, v17 dst_sel:DWORD dst_unused:UNUSED_PAD src0_sel:DWORD src1_sel:BYTE_0
	v_add_co_u32 v16, s0, 0xd20, v34
	v_add_co_ci_u32_e64 v17, s0, 0, v104, s0
	v_add3_u32 v18, 0, v18, v86
	v_add_f64 v[22:23], v[98:99], v[72:73]
	v_add_f64 v[48:49], v[96:97], v[62:63]
	;; [unrolled: 1-line block ×4, first 2 shown]
	v_add_f64 v[24:25], v[94:95], -v[56:57]
	v_add_f64 v[26:27], v[98:99], -v[72:73]
	;; [unrolled: 1-line block ×4, first 2 shown]
	v_add_f64 v[56:57], v[102:103], v[82:83]
	v_add_f64 v[58:59], v[78:79], v[84:85]
	v_add_f64 v[64:65], v[76:77], v[74:75]
	v_add_f64 v[66:67], v[80:81], v[70:71]
	v_add_f64 v[60:61], v[102:103], -v[82:83]
	v_add_f64 v[62:63], v[78:79], -v[84:85]
	;; [unrolled: 1-line block ×4, first 2 shown]
	ds_write_b128 v18, v[0:3]
	ds_write_b128 v18, v[4:7] offset:1728
	ds_write_b128 v18, v[20:23] offset:576
	;; [unrolled: 1-line block ×5, first 2 shown]
	ds_write_b128 v19, v[8:11]
	ds_write_b128 v19, v[56:59] offset:576
	ds_write_b128 v19, v[64:67] offset:1152
	;; [unrolled: 1-line block ×5, first 2 shown]
	v_add_co_u32 v0, s0, 0x800, v34
	v_add_co_ci_u32_e64 v1, s0, 0, v104, s0
	s_waitcnt lgkmcnt(0)
	s_barrier
	buffer_gl0_inv
	s_clause 0x4
	global_load_dwordx4 v[48:51], v[16:17], off offset:32
	global_load_dwordx4 v[62:65], v[0:1], off offset:1376
	;; [unrolled: 1-line block ×5, first 2 shown]
	ds_read_b128 v[12:15], v31 offset:20736
	ds_read_b128 v[52:55], v31 offset:24192
	;; [unrolled: 1-line block ×8, first 2 shown]
	v_add_co_u32 v34, s0, s12, v38
	s_waitcnt vmcnt(3) lgkmcnt(5)
	v_mul_f64 v[82:83], v[68:69], v[64:65]
	v_mul_f64 v[84:85], v[66:67], v[64:65]
	;; [unrolled: 1-line block ×6, first 2 shown]
	s_waitcnt lgkmcnt(4)
	v_mul_f64 v[86:87], v[72:73], v[64:65]
	v_mul_f64 v[64:65], v[70:71], v[64:65]
	s_waitcnt vmcnt(2) lgkmcnt(3)
	v_mul_f64 v[88:89], v[76:77], v[26:27]
	v_mul_f64 v[90:91], v[74:75], v[26:27]
	s_waitcnt lgkmcnt(2)
	v_mul_f64 v[92:93], v[80:81], v[26:27]
	v_mul_f64 v[94:95], v[78:79], v[26:27]
	v_fma_f64 v[26:27], v[68:69], v[62:63], v[84:85]
	v_fma_f64 v[60:61], v[12:13], v[48:49], -v[20:21]
	v_fma_f64 v[58:59], v[14:15], v[48:49], v[22:23]
	v_fma_f64 v[56:57], v[52:53], v[48:49], -v[56:57]
	v_fma_f64 v[52:53], v[66:67], v[62:63], -v[82:83]
	ds_read_b128 v[20:23], v31 offset:27648
	ds_read_b128 v[12:15], v31 offset:31104
	v_fma_f64 v[54:55], v[54:55], v[48:49], v[50:51]
	v_fma_f64 v[48:49], v[70:71], v[62:63], -v[86:87]
	v_fma_f64 v[50:51], v[72:73], v[62:63], v[64:65]
	v_add_co_ci_u32_e64 v85, s0, s13, v39, s0
	v_add_co_u32 v86, s0, s12, v44
	v_add_co_ci_u32_e64 v87, s0, s13, v45, s0
	s_waitcnt vmcnt(1) lgkmcnt(3)
	v_mul_f64 v[38:39], v[18:19], v[6:7]
	v_mul_f64 v[44:45], v[16:17], v[6:7]
	s_waitcnt lgkmcnt(2)
	v_mul_f64 v[62:63], v[10:11], v[6:7]
	v_mul_f64 v[6:7], v[8:9], v[6:7]
	v_fma_f64 v[70:71], v[74:75], v[24:25], -v[88:89]
	v_fma_f64 v[72:73], v[76:77], v[24:25], v[90:91]
	v_fma_f64 v[74:75], v[78:79], v[24:25], -v[92:93]
	v_fma_f64 v[24:25], v[80:81], v[24:25], v[94:95]
	v_add_co_u32 v84, s0, 0x5000, v34
	s_waitcnt vmcnt(0) lgkmcnt(1)
	v_mul_f64 v[64:65], v[22:23], v[2:3]
	v_mul_f64 v[66:67], v[20:21], v[2:3]
	s_waitcnt lgkmcnt(0)
	v_mul_f64 v[68:69], v[14:15], v[2:3]
	v_mul_f64 v[2:3], v[12:13], v[2:3]
	v_add_f64 v[76:77], v[60:61], v[52:53]
	v_add_f64 v[78:79], v[58:59], v[26:27]
	;; [unrolled: 1-line block ×4, first 2 shown]
	v_add_co_ci_u32_e64 v85, s0, 0, v85, s0
	v_add_co_u32 v86, s0, 0x5000, v86
	v_fma_f64 v[38:39], v[16:17], v[4:5], -v[38:39]
	v_fma_f64 v[44:45], v[18:19], v[4:5], v[44:45]
	v_fma_f64 v[8:9], v[8:9], v[4:5], -v[62:63]
	v_fma_f64 v[4:5], v[10:11], v[4:5], v[6:7]
	v_add_f64 v[62:63], v[56:57], -v[48:49]
	ds_read_b128 v[16:19], v31
	v_add_co_ci_u32_e64 v87, s0, 0, v87, s0
	v_add_co_u32 v34, s0, s12, v36
	v_fma_f64 v[20:21], v[20:21], v[0:1], -v[64:65]
	v_fma_f64 v[22:23], v[22:23], v[0:1], v[66:67]
	v_fma_f64 v[6:7], v[12:13], v[0:1], -v[68:69]
	v_fma_f64 v[10:11], v[14:15], v[0:1], v[2:3]
	ds_read_b128 v[0:3], v31 offset:3456
	v_add_f64 v[12:13], v[60:61], -v[52:53]
	v_add_f64 v[14:15], v[58:59], -v[26:27]
	v_fma_f64 v[64:65], v[76:77], -0.5, v[70:71]
	v_fma_f64 v[68:69], v[78:79], -0.5, v[72:73]
	v_add_f64 v[66:67], v[54:55], -v[50:51]
	v_fma_f64 v[76:77], v[80:81], -0.5, v[74:75]
	v_fma_f64 v[78:79], v[82:83], -0.5, v[24:25]
	v_add_co_ci_u32_e64 v90, s0, s13, v37, s0
	v_add_co_u32 v91, s0, s12, v40
	v_add_co_ci_u32_e64 v92, s0, s13, v41, s0
	v_add_f64 v[58:59], v[72:73], v[58:59]
	v_add_f64 v[60:61], v[70:71], v[60:61]
	v_add_co_u32 v93, s0, s12, v42
	v_add_f64 v[36:37], v[38:39], v[20:21]
	v_add_f64 v[40:41], v[44:45], v[22:23]
	;; [unrolled: 1-line block ×4, first 2 shown]
	s_waitcnt lgkmcnt(1)
	v_add_f64 v[80:81], v[16:17], v[38:39]
	v_add_co_ci_u32_e64 v94, s0, s13, v43, s0
	v_fma_f64 v[72:73], v[14:15], s[4:5], v[64:65]
	v_fma_f64 v[14:15], v[14:15], s[6:7], v[64:65]
	v_fma_f64 v[64:65], v[12:13], s[6:7], v[68:69]
	v_fma_f64 v[12:13], v[12:13], s[4:5], v[68:69]
	v_fma_f64 v[68:69], v[66:67], s[4:5], v[76:77]
	v_fma_f64 v[66:67], v[66:67], s[6:7], v[76:77]
	v_fma_f64 v[76:77], v[62:63], s[6:7], v[78:79]
	v_fma_f64 v[42:43], v[62:63], s[4:5], v[78:79]
	v_add_f64 v[88:89], v[18:19], v[44:45]
	s_waitcnt lgkmcnt(0)
	v_add_f64 v[62:63], v[0:1], v[8:9]
	v_add_f64 v[56:57], v[74:75], v[56:57]
	;; [unrolled: 1-line block ×4, first 2 shown]
	v_add_f64 v[38:39], v[38:39], -v[20:21]
	v_add_f64 v[44:45], v[44:45], -v[22:23]
	v_fma_f64 v[16:17], v[36:37], -0.5, v[16:17]
	v_fma_f64 v[18:19], v[40:41], -0.5, v[18:19]
	v_add_f64 v[8:9], v[8:9], -v[6:7]
	v_fma_f64 v[2:3], v[70:71], -0.5, v[2:3]
	v_add_f64 v[4:5], v[4:5], -v[10:11]
	v_fma_f64 v[0:1], v[82:83], -0.5, v[0:1]
	v_add_f64 v[52:53], v[60:61], v[52:53]
	v_mul_f64 v[40:41], v[72:73], s[6:7]
	v_mul_f64 v[54:55], v[14:15], -0.5
	v_mul_f64 v[36:37], v[64:65], s[4:5]
	v_mul_f64 v[70:71], v[12:13], -0.5
	v_mul_f64 v[78:79], v[68:69], s[6:7]
	v_add_f64 v[20:21], v[80:81], v[20:21]
	v_mul_f64 v[60:61], v[76:77], s[4:5]
	v_mul_f64 v[80:81], v[66:67], -0.5
	v_mul_f64 v[82:83], v[42:43], -0.5
	v_add_f64 v[22:23], v[88:89], v[22:23]
	v_add_co_u32 v88, s0, s12, v46
	v_add_f64 v[26:27], v[58:59], v[26:27]
	v_add_co_ci_u32_e64 v89, s0, s13, v47, s0
	v_add_f64 v[46:47], v[62:63], v[6:7]
	v_add_f64 v[58:59], v[74:75], v[10:11]
	;; [unrolled: 1-line block ×4, first 2 shown]
	v_fma_f64 v[50:51], v[44:45], s[4:5], v[16:17]
	v_fma_f64 v[56:57], v[38:39], s[6:7], v[18:19]
	v_fma_f64 v[44:45], v[44:45], s[6:7], v[16:17]
	v_fma_f64 v[40:41], v[64:65], 0.5, v[40:41]
	v_fma_f64 v[38:39], v[38:39], s[4:5], v[18:19]
	v_fma_f64 v[36:37], v[72:73], 0.5, v[36:37]
	v_fma_f64 v[54:55], v[12:13], s[4:5], v[54:55]
	v_fma_f64 v[62:63], v[14:15], s[6:7], v[70:71]
	v_fma_f64 v[64:65], v[4:5], s[4:5], v[0:1]
	v_fma_f64 v[70:71], v[8:9], s[6:7], v[2:3]
	v_fma_f64 v[60:61], v[68:69], 0.5, v[60:61]
	v_fma_f64 v[68:69], v[76:77], 0.5, v[78:79]
	v_fma_f64 v[72:73], v[4:5], s[6:7], v[0:1]
	v_fma_f64 v[74:75], v[8:9], s[4:5], v[2:3]
	;; [unrolled: 1-line block ×4, first 2 shown]
	v_add_f64 v[0:1], v[20:21], v[52:53]
	v_add_f64 v[2:3], v[22:23], v[26:27]
	v_add_f64 v[4:5], v[20:21], -v[52:53]
	v_add_f64 v[6:7], v[22:23], -v[26:27]
	v_add_f64 v[8:9], v[46:47], v[48:49]
	v_add_f64 v[10:11], v[58:59], v[24:25]
	v_add_f64 v[12:13], v[46:47], -v[48:49]
	v_add_f64 v[14:15], v[58:59], -v[24:25]
	v_add_f64 v[18:19], v[56:57], v[40:41]
	v_add_f64 v[22:23], v[56:57], -v[40:41]
	v_add_f64 v[16:17], v[50:51], v[36:37]
	v_add_f64 v[24:25], v[44:45], v[54:55]
	;; [unrolled: 1-line block ×3, first 2 shown]
	v_add_f64 v[20:21], v[50:51], -v[36:37]
	v_add_f64 v[36:37], v[44:45], -v[54:55]
	;; [unrolled: 1-line block ×3, first 2 shown]
	v_add_f64 v[40:41], v[64:65], v[60:61]
	v_add_f64 v[42:43], v[70:71], v[68:69]
	v_add_f64 v[44:45], v[64:65], -v[60:61]
	v_add_f64 v[48:49], v[72:73], v[76:77]
	v_add_f64 v[50:51], v[74:75], v[66:67]
	v_add_f64 v[46:47], v[70:71], -v[68:69]
	v_add_f64 v[52:53], v[72:73], -v[76:77]
	;; [unrolled: 1-line block ×3, first 2 shown]
	v_add_co_u32 v56, s0, 0x5000, v34
	v_add_co_ci_u32_e64 v57, s0, 0, v90, s0
	v_add_co_u32 v58, s0, 0x5000, v91
	v_add_co_ci_u32_e64 v59, s0, 0, v92, s0
	s_barrier
	buffer_gl0_inv
	ds_write_b128 v31, v[0:3]
	ds_write_b128 v31, v[4:7] offset:10368
	ds_write_b128 v31, v[8:11] offset:20736
	ds_write_b128 v31, v[12:15] offset:31104
	ds_write_b128 v31, v[16:19] offset:3456
	ds_write_b128 v31, v[24:27] offset:6912
	ds_write_b128 v31, v[20:23] offset:13824
	ds_write_b128 v31, v[36:39] offset:17280
	ds_write_b128 v31, v[40:43] offset:24192
	ds_write_b128 v31, v[48:51] offset:27648
	ds_write_b128 v31, v[44:47] offset:34560
	ds_write_b128 v31, v[52:55] offset:38016
	v_add_co_u32 v16, s0, 0x5000, v93
	v_add_co_ci_u32_e64 v17, s0, 0, v94, s0
	s_waitcnt lgkmcnt(0)
	s_barrier
	buffer_gl0_inv
	global_load_dwordx4 v[0:3], v[84:85], off offset:160
	v_add_co_u32 v20, s0, 0x5000, v88
	s_clause 0x1
	global_load_dwordx4 v[4:7], v[86:87], off offset:160
	global_load_dwordx4 v[8:11], v[56:57], off offset:160
	v_add_co_ci_u32_e64 v21, s0, 0, v89, s0
	s_clause 0x2
	global_load_dwordx4 v[12:15], v[58:59], off offset:160
	global_load_dwordx4 v[16:19], v[16:17], off offset:160
	;; [unrolled: 1-line block ×3, first 2 shown]
	ds_read_b128 v[24:27], v31 offset:20736
	ds_read_b128 v[36:39], v31 offset:24192
	;; [unrolled: 1-line block ×6, first 2 shown]
	ds_read_b128 v[56:59], v31
	ds_read_b128 v[60:63], v31 offset:3456
	s_waitcnt vmcnt(5) lgkmcnt(7)
	v_mul_f64 v[64:65], v[26:27], v[2:3]
	v_mul_f64 v[2:3], v[24:25], v[2:3]
	s_waitcnt vmcnt(4) lgkmcnt(6)
	v_mul_f64 v[66:67], v[38:39], v[6:7]
	v_mul_f64 v[6:7], v[36:37], v[6:7]
	;; [unrolled: 3-line block ×6, first 2 shown]
	v_fma_f64 v[64:65], v[24:25], v[0:1], -v[64:65]
	v_fma_f64 v[26:27], v[26:27], v[0:1], v[2:3]
	v_fma_f64 v[36:37], v[36:37], v[4:5], -v[66:67]
	v_fma_f64 v[38:39], v[38:39], v[4:5], v[6:7]
	;; [unrolled: 2-line block ×5, first 2 shown]
	ds_read_b128 v[0:3], v31 offset:6912
	ds_read_b128 v[22:25], v31 offset:10368
	v_fma_f64 v[52:53], v[52:53], v[20:21], -v[74:75]
	v_fma_f64 v[20:21], v[54:55], v[20:21], v[76:77]
	ds_read_b128 v[4:7], v31 offset:13824
	ds_read_b128 v[8:11], v31 offset:17280
	s_waitcnt lgkmcnt(0)
	s_barrier
	buffer_gl0_inv
	v_add_f64 v[12:13], v[56:57], -v[64:65]
	v_add_f64 v[14:15], v[58:59], -v[26:27]
	;; [unrolled: 1-line block ×12, first 2 shown]
	v_fma_f64 v[52:53], v[56:57], 2.0, -v[12:13]
	v_fma_f64 v[54:55], v[58:59], 2.0, -v[14:15]
	;; [unrolled: 1-line block ×12, first 2 shown]
	ds_write_b128 v31, v[12:15] offset:20736
	ds_write_b128 v31, v[16:19] offset:24192
	;; [unrolled: 1-line block ×6, first 2 shown]
	ds_write_b128 v31, v[52:55]
	ds_write_b128 v31, v[56:59] offset:3456
	ds_write_b128 v31, v[0:3] offset:6912
	ds_write_b128 v31, v[20:23] offset:10368
	ds_write_b128 v31, v[4:7] offset:13824
	ds_write_b128 v31, v[8:11] offset:17280
	s_waitcnt lgkmcnt(0)
	s_barrier
	buffer_gl0_inv
	s_and_saveexec_b32 s0, vcc_lo
	s_cbranch_execz .LBB0_21
; %bb.20:
	v_mul_lo_u32 v2, s3, v32
	v_mul_lo_u32 v3, s2, v33
	v_mad_u64_u32 v[0:1], null, s2, v32, 0
	v_lshl_add_u32 v26, v30, 4, 0
	v_mov_b32_e32 v31, v35
	v_lshlrev_b64 v[8:9], 4, v[28:29]
	v_add_nc_u32_e32 v34, 0xd8, v30
	v_add3_u32 v1, v1, v3, v2
	v_lshlrev_b64 v[12:13], 4, v[30:31]
	v_lshlrev_b64 v[16:17], 4, v[34:35]
	v_add_nc_u32_e32 v34, 0x1b0, v30
	v_lshlrev_b64 v[10:11], 4, v[0:1]
	ds_read_b128 v[0:3], v26
	ds_read_b128 v[4:7], v26 offset:3456
	v_lshlrev_b64 v[20:21], 4, v[34:35]
	v_add_nc_u32_e32 v34, 0x288, v30
	v_add_co_u32 v10, vcc_lo, s10, v10
	v_add_co_ci_u32_e32 v11, vcc_lo, s11, v11, vcc_lo
	v_add_co_u32 v31, vcc_lo, v10, v8
	v_add_co_ci_u32_e32 v32, vcc_lo, v11, v9, vcc_lo
	;; [unrolled: 2-line block ×3, first 2 shown]
	ds_read_b128 v[8:11], v26 offset:6912
	ds_read_b128 v[12:15], v26 offset:10368
	s_waitcnt lgkmcnt(3)
	global_store_dwordx4 v[18:19], v[0:3], off
	v_add_co_u32 v0, vcc_lo, v31, v16
	v_lshlrev_b64 v[2:3], 4, v[34:35]
	v_add_co_ci_u32_e32 v1, vcc_lo, v32, v17, vcc_lo
	v_add_co_u32 v16, vcc_lo, v31, v20
	v_add_co_ci_u32_e32 v17, vcc_lo, v32, v21, vcc_lo
	v_add_co_u32 v2, vcc_lo, v31, v2
	v_add_nc_u32_e32 v34, 0x360, v30
	v_add_co_ci_u32_e32 v3, vcc_lo, v32, v3, vcc_lo
	s_waitcnt lgkmcnt(2)
	global_store_dwordx4 v[0:1], v[4:7], off
	s_waitcnt lgkmcnt(1)
	global_store_dwordx4 v[16:17], v[8:11], off
	;; [unrolled: 2-line block ×3, first 2 shown]
	v_lshlrev_b64 v[18:19], 4, v[34:35]
	v_add_nc_u32_e32 v34, 0x438, v30
	ds_read_b128 v[0:3], v26 offset:13824
	ds_read_b128 v[4:7], v26 offset:17280
	;; [unrolled: 1-line block ×3, first 2 shown]
	v_lshlrev_b64 v[12:13], 4, v[34:35]
	v_add_nc_u32_e32 v34, 0x510, v30
	v_add_co_u32 v14, vcc_lo, v31, v18
	v_add_co_ci_u32_e32 v15, vcc_lo, v32, v19, vcc_lo
	v_lshlrev_b64 v[16:17], 4, v[34:35]
	v_add_nc_u32_e32 v34, 0x5e8, v30
	v_add_co_u32 v12, vcc_lo, v31, v12
	v_add_co_ci_u32_e32 v13, vcc_lo, v32, v13, vcc_lo
	v_lshlrev_b64 v[18:19], 4, v[34:35]
	v_add_nc_u32_e32 v34, 0x6c0, v30
	v_add_co_u32 v16, vcc_lo, v31, v16
	s_waitcnt lgkmcnt(2)
	global_store_dwordx4 v[14:15], v[0:3], off
	s_waitcnt lgkmcnt(1)
	global_store_dwordx4 v[12:13], v[4:7], off
	v_add_co_ci_u32_e32 v17, vcc_lo, v32, v17, vcc_lo
	v_lshlrev_b64 v[4:5], 4, v[34:35]
	v_add_co_u32 v20, vcc_lo, v31, v18
	v_add_nc_u32_e32 v34, 0x798, v30
	v_add_co_ci_u32_e32 v21, vcc_lo, v32, v19, vcc_lo
	v_add_co_u32 v22, vcc_lo, v31, v4
	s_waitcnt lgkmcnt(0)
	global_store_dwordx4 v[16:17], v[8:11], off
	ds_read_b128 v[0:3], v26 offset:24192
	v_add_co_ci_u32_e32 v23, vcc_lo, v32, v5, vcc_lo
	ds_read_b128 v[4:7], v26 offset:27648
	ds_read_b128 v[8:11], v26 offset:31104
	;; [unrolled: 1-line block ×4, first 2 shown]
	v_lshlrev_b64 v[24:25], 4, v[34:35]
	v_add_nc_u32_e32 v34, 0x870, v30
	v_lshlrev_b64 v[26:27], 4, v[34:35]
	v_add_nc_u32_e32 v34, 0x948, v30
	v_add_co_u32 v24, vcc_lo, v31, v24
	v_add_co_ci_u32_e32 v25, vcc_lo, v32, v25, vcc_lo
	v_lshlrev_b64 v[28:29], 4, v[34:35]
	v_add_co_u32 v26, vcc_lo, v31, v26
	v_add_co_ci_u32_e32 v27, vcc_lo, v32, v27, vcc_lo
	v_add_co_u32 v28, vcc_lo, v31, v28
	v_add_co_ci_u32_e32 v29, vcc_lo, v32, v29, vcc_lo
	s_waitcnt lgkmcnt(4)
	global_store_dwordx4 v[20:21], v[0:3], off
	s_waitcnt lgkmcnt(3)
	global_store_dwordx4 v[22:23], v[4:7], off
	;; [unrolled: 2-line block ×5, first 2 shown]
.LBB0_21:
	s_endpgm
	.section	.rodata,"a",@progbits
	.p2align	6, 0x0
	.amdhsa_kernel fft_rtc_fwd_len2592_factors_6_6_6_6_2_wgs_216_tpt_216_halfLds_dp_op_CI_CI_unitstride_sbrr_C2R_dirReg
		.amdhsa_group_segment_fixed_size 0
		.amdhsa_private_segment_fixed_size 0
		.amdhsa_kernarg_size 104
		.amdhsa_user_sgpr_count 6
		.amdhsa_user_sgpr_private_segment_buffer 1
		.amdhsa_user_sgpr_dispatch_ptr 0
		.amdhsa_user_sgpr_queue_ptr 0
		.amdhsa_user_sgpr_kernarg_segment_ptr 1
		.amdhsa_user_sgpr_dispatch_id 0
		.amdhsa_user_sgpr_flat_scratch_init 0
		.amdhsa_user_sgpr_private_segment_size 0
		.amdhsa_wavefront_size32 1
		.amdhsa_uses_dynamic_stack 0
		.amdhsa_system_sgpr_private_segment_wavefront_offset 0
		.amdhsa_system_sgpr_workgroup_id_x 1
		.amdhsa_system_sgpr_workgroup_id_y 0
		.amdhsa_system_sgpr_workgroup_id_z 0
		.amdhsa_system_sgpr_workgroup_info 0
		.amdhsa_system_vgpr_workitem_id 0
		.amdhsa_next_free_vgpr 106
		.amdhsa_next_free_sgpr 27
		.amdhsa_reserve_vcc 1
		.amdhsa_reserve_flat_scratch 0
		.amdhsa_float_round_mode_32 0
		.amdhsa_float_round_mode_16_64 0
		.amdhsa_float_denorm_mode_32 3
		.amdhsa_float_denorm_mode_16_64 3
		.amdhsa_dx10_clamp 1
		.amdhsa_ieee_mode 1
		.amdhsa_fp16_overflow 0
		.amdhsa_workgroup_processor_mode 1
		.amdhsa_memory_ordered 1
		.amdhsa_forward_progress 0
		.amdhsa_shared_vgpr_count 0
		.amdhsa_exception_fp_ieee_invalid_op 0
		.amdhsa_exception_fp_denorm_src 0
		.amdhsa_exception_fp_ieee_div_zero 0
		.amdhsa_exception_fp_ieee_overflow 0
		.amdhsa_exception_fp_ieee_underflow 0
		.amdhsa_exception_fp_ieee_inexact 0
		.amdhsa_exception_int_div_zero 0
	.end_amdhsa_kernel
	.text
.Lfunc_end0:
	.size	fft_rtc_fwd_len2592_factors_6_6_6_6_2_wgs_216_tpt_216_halfLds_dp_op_CI_CI_unitstride_sbrr_C2R_dirReg, .Lfunc_end0-fft_rtc_fwd_len2592_factors_6_6_6_6_2_wgs_216_tpt_216_halfLds_dp_op_CI_CI_unitstride_sbrr_C2R_dirReg
                                        ; -- End function
	.section	.AMDGPU.csdata,"",@progbits
; Kernel info:
; codeLenInByte = 10412
; NumSgprs: 29
; NumVgprs: 106
; ScratchSize: 0
; MemoryBound: 0
; FloatMode: 240
; IeeeMode: 1
; LDSByteSize: 0 bytes/workgroup (compile time only)
; SGPRBlocks: 3
; VGPRBlocks: 13
; NumSGPRsForWavesPerEU: 29
; NumVGPRsForWavesPerEU: 106
; Occupancy: 9
; WaveLimiterHint : 1
; COMPUTE_PGM_RSRC2:SCRATCH_EN: 0
; COMPUTE_PGM_RSRC2:USER_SGPR: 6
; COMPUTE_PGM_RSRC2:TRAP_HANDLER: 0
; COMPUTE_PGM_RSRC2:TGID_X_EN: 1
; COMPUTE_PGM_RSRC2:TGID_Y_EN: 0
; COMPUTE_PGM_RSRC2:TGID_Z_EN: 0
; COMPUTE_PGM_RSRC2:TIDIG_COMP_CNT: 0
	.text
	.p2alignl 6, 3214868480
	.fill 48, 4, 3214868480
	.type	__hip_cuid_cbb6806d7c6b7cd7,@object ; @__hip_cuid_cbb6806d7c6b7cd7
	.section	.bss,"aw",@nobits
	.globl	__hip_cuid_cbb6806d7c6b7cd7
__hip_cuid_cbb6806d7c6b7cd7:
	.byte	0                               ; 0x0
	.size	__hip_cuid_cbb6806d7c6b7cd7, 1

	.ident	"AMD clang version 19.0.0git (https://github.com/RadeonOpenCompute/llvm-project roc-6.4.0 25133 c7fe45cf4b819c5991fe208aaa96edf142730f1d)"
	.section	".note.GNU-stack","",@progbits
	.addrsig
	.addrsig_sym __hip_cuid_cbb6806d7c6b7cd7
	.amdgpu_metadata
---
amdhsa.kernels:
  - .args:
      - .actual_access:  read_only
        .address_space:  global
        .offset:         0
        .size:           8
        .value_kind:     global_buffer
      - .offset:         8
        .size:           8
        .value_kind:     by_value
      - .actual_access:  read_only
        .address_space:  global
        .offset:         16
        .size:           8
        .value_kind:     global_buffer
      - .actual_access:  read_only
        .address_space:  global
        .offset:         24
        .size:           8
        .value_kind:     global_buffer
      - .actual_access:  read_only
        .address_space:  global
        .offset:         32
        .size:           8
        .value_kind:     global_buffer
      - .offset:         40
        .size:           8
        .value_kind:     by_value
      - .actual_access:  read_only
        .address_space:  global
        .offset:         48
        .size:           8
        .value_kind:     global_buffer
      - .actual_access:  read_only
        .address_space:  global
        .offset:         56
        .size:           8
        .value_kind:     global_buffer
      - .offset:         64
        .size:           4
        .value_kind:     by_value
      - .actual_access:  read_only
        .address_space:  global
        .offset:         72
        .size:           8
        .value_kind:     global_buffer
      - .actual_access:  read_only
        .address_space:  global
        .offset:         80
        .size:           8
        .value_kind:     global_buffer
      - .actual_access:  read_only
        .address_space:  global
        .offset:         88
        .size:           8
        .value_kind:     global_buffer
      - .actual_access:  write_only
        .address_space:  global
        .offset:         96
        .size:           8
        .value_kind:     global_buffer
    .group_segment_fixed_size: 0
    .kernarg_segment_align: 8
    .kernarg_segment_size: 104
    .language:       OpenCL C
    .language_version:
      - 2
      - 0
    .max_flat_workgroup_size: 216
    .name:           fft_rtc_fwd_len2592_factors_6_6_6_6_2_wgs_216_tpt_216_halfLds_dp_op_CI_CI_unitstride_sbrr_C2R_dirReg
    .private_segment_fixed_size: 0
    .sgpr_count:     29
    .sgpr_spill_count: 0
    .symbol:         fft_rtc_fwd_len2592_factors_6_6_6_6_2_wgs_216_tpt_216_halfLds_dp_op_CI_CI_unitstride_sbrr_C2R_dirReg.kd
    .uniform_work_group_size: 1
    .uses_dynamic_stack: false
    .vgpr_count:     106
    .vgpr_spill_count: 0
    .wavefront_size: 32
    .workgroup_processor_mode: 1
amdhsa.target:   amdgcn-amd-amdhsa--gfx1030
amdhsa.version:
  - 1
  - 2
...

	.end_amdgpu_metadata
